;; amdgpu-corpus repo=zjin-lcf/HeCBench kind=compiled arch=gfx950 opt=O3
	.amdgcn_target "amdgcn-amd-amdhsa--gfx950"
	.amdhsa_code_object_version 6
	.text
	.protected	_Z9hotspot3dPKfS0_Pfiiiffffffff ; -- Begin function _Z9hotspot3dPKfS0_Pfiiiffffffff
	.globl	_Z9hotspot3dPKfS0_Pfiiiffffffff
	.p2align	8
	.type	_Z9hotspot3dPKfS0_Pfiiiffffffff,@function
_Z9hotspot3dPKfS0_Pfiiiffffffff:        ; @_Z9hotspot3dPKfS0_Pfiiiffffffff
; %bb.0:
	s_load_dword s16, s[0:1], 0x54
	s_load_dwordx4 s[12:15], s[0:1], 0x0
	s_load_dwordx2 s[20:21], s[0:1], 0x10
	s_load_dwordx8 s[4:11], s[0:1], 0x18
	v_and_b32_e32 v1, 0x3ff, v0
	s_waitcnt lgkmcnt(0)
	s_lshr_b32 s17, s16, 16
	s_and_b32 s16, s16, 0xffff
	s_mul_i32 s3, s3, s17
	v_bfe_u32 v0, v0, 10, 10
	s_mul_i32 s2, s2, s16
	v_add_u32_e32 v2, s3, v0
	v_add_u32_e32 v1, s2, v1
	v_mul_lo_u32 v3, v2, s4
	v_add_u32_e32 v0, v3, v1
	v_add_u32_e32 v4, -1, v0
	v_cmp_eq_u32_e32 vcc, 0, v1
	s_add_i32 s2, s4, -1
	s_mul_i32 s22, s5, s4
	v_cndmask_b32_e32 v14, v4, v3, vcc
	v_cmp_ne_u32_e32 vcc, s2, v1
	v_subrev_u32_e32 v4, s4, v0
	v_cmp_eq_u32_e64 s[2:3], 0, v2
	v_cndmask_b32_e64 v3, 0, 1, vcc
	s_ashr_i32 s23, s22, 31
	v_cndmask_b32_e64 v6, v4, v1, s[2:3]
	s_add_i32 s2, s5, -1
	v_mov_b32_e32 v1, s4
	v_cmp_ne_u32_e64 s[2:3], s2, v2
	v_ashrrev_i32_e32 v15, 31, v14
	v_lshlrev_b32_e32 v2, 2, v3
	v_cndmask_b32_e64 v8, 0, v1, s[2:3]
	v_ashrrev_i32_e32 v1, 31, v0
	v_lshlrev_b64 v[16:17], 2, v[0:1]
	v_lshl_add_u64 v[4:5], s[12:13], 0, v[16:17]
	v_mov_b32_e32 v3, 0
	v_ashrrev_i32_e32 v9, 31, v8
	v_ashrrev_i32_e32 v7, 31, v6
	v_lshl_add_u64 v[26:27], s[14:15], 0, v[16:17]
	v_lshl_add_u64 v[10:11], s[22:23], 2, v[4:5]
	v_lshl_add_u64 v[18:19], v[14:15], 2, s[12:13]
	v_lshl_add_u64 v[20:21], v[4:5], 0, v[2:3]
	v_lshl_add_u64 v[22:23], v[8:9], 2, v[4:5]
	v_lshl_add_u64 v[24:25], v[6:7], 2, s[12:13]
	global_load_dword v29, v[26:27], off
	global_load_dword v12, v[4:5], off
	;; [unrolled: 1-line block ×7, first 2 shown]
	s_load_dwordx4 s[16:19], s[0:1], 0x38
	s_mov_b32 s1, s7
	s_mov_b32 s2, s10
	;; [unrolled: 1-line block ×4, first 2 shown]
	s_waitcnt lgkmcnt(0)
	s_mov_b32 s0, s17
	s_mov_b32 s24, s16
	v_mov_b32_e32 v28, 0x42a00000
	s_mov_b32 s28, s11
	s_mov_b32 s29, s18
	v_mov_b32_e32 v1, s22
	v_add_u32_e32 v4, s22, v0
	v_addc_co_u32_e32 v10, vcc, v0, v1, vcc
	s_cmp_lt_i32 s6, 3
	v_ashrrev_i32_e32 v5, 31, v4
	v_add_u32_e32 v8, v4, v8
	v_lshl_add_u64 v[16:17], s[20:21], 0, v[16:17]
	v_add_u32_e32 v6, s22, v6
	v_add_u32_e32 v14, s22, v14
	s_waitcnt vmcnt(6)
	v_pk_mul_f32 v[0:1], s[28:29], v[28:29]
	s_waitcnt vmcnt(4)
	v_pk_mul_f32 v[18:19], s[0:1], v[12:13]
	;; [unrolled: 2-line block ×3, first 2 shown]
	s_waitcnt vmcnt(1)
	v_mov_b32_e32 v13, v2
	s_waitcnt vmcnt(0)
	v_fma_f32 v3, s8, v3, v18
	v_add_f32_e32 v3, v3, v19
	v_add_f32_e32 v3, v3, v22
	v_pk_mul_f32 v[20:21], s[24:25], v[12:13]
	v_add_f32_e32 v3, v3, v23
	v_add_f32_e32 v3, v20, v3
	;; [unrolled: 1-line block ×5, first 2 shown]
	global_store_dword v[16:17], v1, off
	s_cbranch_scc1 .LBB0_16
; %bb.1:
	s_add_i32 s25, s6, -2
	s_mov_b32 s4, s17
	s_cmp_gt_u32 s25, 1
	v_readfirstlane_b32 s30, v0
	s_cbranch_scc0 .LBB0_6
; %bb.2:
	s_and_b32 s33, s25, -2
	v_add_u32_e32 v15, s22, v14
	s_lshl_b32 s39, s22, 1
	v_add_u32_e32 v11, s22, v10
	v_add_u32_e32 v7, s22, v6
	v_add_u32_e32 v9, s22, v8
	s_mov_b32 s26, s11
	s_mov_b32 s5, s17
	;; [unrolled: 1-line block ×14, first 2 shown]
	v_mov_b32_e32 v1, v0
	s_mov_b32 s7, s22
	s_mov_b32 s38, s22
	;; [unrolled: 1-line block ×3, first 2 shown]
	v_add_u32_e32 v3, s22, v4
	v_mov_b32_e32 v20, v4
	s_mov_b32 s41, s33
	v_mov_b64_e32 v[22:23], v[14:15]
	v_mov_b64_e32 v[24:25], v[10:11]
	v_mov_b64_e32 v[26:27], v[6:7]
	v_mov_b64_e32 v[28:29], v[8:9]
	v_mov_b32_e32 v17, v2
	v_mov_b32_e32 v30, v12
.LBB0_3:                                ; =>This Inner Loop Header: Depth=1
	v_mov_b32_e32 v32, v16
	v_add_u32_e32 v16, s7, v20
	v_mov_b32_e32 v33, v17
	v_add_u32_e32 v18, s38, v3
	v_ashrrev_i32_e32 v49, 31, v26
	v_mov_b32_e32 v48, v26
	v_ashrrev_i32_e32 v17, 31, v16
	v_ashrrev_i32_e32 v35, 31, v23
	v_mov_b32_e32 v34, v23
	v_ashrrev_i32_e32 v37, 31, v22
	v_mov_b32_e32 v36, v22
	;; [unrolled: 2-line block ×7, first 2 shown]
	v_ashrrev_i32_e32 v19, 31, v18
	v_lshl_add_u64 v[48:49], v[48:49], 2, s[12:13]
	v_lshl_add_u64 v[54:55], v[16:17], 2, s[12:13]
	;; [unrolled: 1-line block ×10, first 2 shown]
	global_load_dword v58, v[48:49], off
	global_load_dword v59, v[46:47], off
	;; [unrolled: 1-line block ×4, first 2 shown]
	s_nop 0
	global_load_dword v48, v[36:37], off
	global_load_dword v49, v[34:35], off
	;; [unrolled: 1-line block ×6, first 2 shown]
	v_ashrrev_i32_e32 v53, 31, v20
	v_mov_b32_e32 v52, v20
	v_ashrrev_i32_e32 v51, 31, v3
	v_mov_b32_e32 v50, v3
	v_lshlrev_b64 v[52:53], 2, v[52:53]
	v_lshlrev_b64 v[50:51], 2, v[50:51]
	v_lshl_add_u64 v[46:47], s[14:15], 0, v[52:53]
	v_lshl_add_u64 v[34:35], s[14:15], 0, v[50:51]
	global_load_dword v36, v[46:47], off
	global_load_dword v37, v[34:35], off
	v_mov_b32_e32 v31, v33
	s_add_i32 s41, s41, -2
	v_add_u32_e32 v23, s40, v23
	v_add_u32_e32 v22, s39, v22
	v_add_u32_e32 v25, s40, v25
	v_add_u32_e32 v24, s39, v24
	v_add_u32_e32 v27, s40, v27
	v_add_u32_e32 v26, s39, v26
	v_add_u32_e32 v29, s40, v29
	v_add_u32_e32 v28, s39, v28
	v_add_u32_e32 v3, s40, v3
	v_add_u32_e32 v20, s39, v20
	s_cmp_lg_u32 s41, 0
	v_lshl_add_u64 v[34:35], s[20:21], 0, v[52:53]
	v_lshl_add_u64 v[38:39], s[20:21], 0, v[50:51]
	s_waitcnt vmcnt(8)
	v_pk_mov_b32 v[32:33], v[32:33], v[16:17] op_sel:[1,0]
	s_waitcnt vmcnt(6)
	v_pk_mul_f32 v[40:41], s[28:29], v[48:49]
	s_nop 0
	v_pk_fma_f32 v[32:33], s[4:5], v[32:33], v[40:41]
	s_waitcnt vmcnt(4)
	v_pk_fma_f32 v[32:33], s[30:31], v[60:61], v[32:33]
	s_waitcnt vmcnt(2)
	v_pk_fma_f32 v[32:33], s[34:35], v[62:63], v[32:33]
	s_nop 0
	v_pk_fma_f32 v[32:33], s[36:37], v[58:59], v[32:33]
	s_nop 0
	v_pk_fma_f32 v[32:33], s[16:17], v[30:31], v[32:33]
	v_mov_b32_e32 v30, v16
	v_pk_fma_f32 v[32:33], s[26:27], v[16:17], v[32:33]
	s_waitcnt vmcnt(0)
	v_pk_fma_f32 v[32:33], s[18:19], v[36:37], v[32:33]
	s_nop 0
	v_pk_add_f32 v[32:33], v[0:1], v[32:33]
	global_store_dword v[34:35], v32, off
	global_store_dword v[38:39], v33, off
	s_cbranch_scc1 .LBB0_3
; %bb.4:
	v_pk_mul_f32 v[20:21], s[26:27], v[16:17]
	s_mul_i32 s5, s33, s22
	s_cmp_eq_u32 s25, s33
	s_mov_b64 s[28:29], 0
	s_cbranch_scc1 .LBB0_7
; %bb.5:
	v_add_u32_e32 v22, s5, v4
	s_or_b32 s30, s25, 1
	v_ashrrev_i32_e32 v23, 31, v22
	s_mov_b64 s[26:27], -1
	v_mov_b32_e32 v3, v17
	s_branch .LBB0_8
.LBB0_6:
	s_mov_b32 s24, s7
	s_mov_b64 s[26:27], 0
                                        ; implicit-def: $vgpr1
                                        ; implicit-def: $vgpr7
                                        ; implicit-def: $vgpr9
                                        ; implicit-def: $vgpr11
                                        ; implicit-def: $vgpr21
                                        ; implicit-def: $vgpr17
                                        ; implicit-def: $vgpr18_vgpr19
                                        ; implicit-def: $vgpr3
                                        ; implicit-def: $vgpr24
                                        ; implicit-def: $vgpr26
                                        ; implicit-def: $vgpr28
                                        ; implicit-def: $vgpr30
                                        ; implicit-def: $vgpr22_vgpr23
	s_cbranch_execnz .LBB0_9
	s_branch .LBB0_10
.LBB0_7:
	v_mov_b32_e32 v3, v16
                                        ; implicit-def: $sgpr30
                                        ; implicit-def: $vgpr22_vgpr23
	s_mov_b64 s[26:27], 0
.LBB0_8:
	v_add_u32_e32 v1, s5, v14
	v_add_u32_e32 v7, s5, v10
	v_add_u32_e32 v9, s5, v6
	v_add_u32_e32 v11, s5, v8
	v_mov_b32_e32 v24, v11
	v_mov_b32_e32 v26, v9
	;; [unrolled: 1-line block ×4, first 2 shown]
	s_and_b64 vcc, exec, s[28:29]
	s_cbranch_vccz .LBB0_10
.LBB0_9:
	s_mov_b64 s[26:27], -1
	s_mov_b32 s30, 1
	v_mov_b32_e32 v16, v12
	v_mov_b32_e32 v3, v2
	;; [unrolled: 1-line block ×6, first 2 shown]
	v_mov_b64_e32 v[22:23], v[4:5]
.LBB0_10:
	s_andn2_b64 vcc, exec, s[26:27]
	s_cbranch_vccnz .LBB0_14
; %bb.11:
	v_lshl_add_u64 v[8:9], v[22:23], 0, s[22:23]
	v_ashrrev_i32_e32 v31, 31, v30
	v_ashrrev_i32_e32 v29, 31, v28
	;; [unrolled: 1-line block ×4, first 2 shown]
	s_not_b32 s7, s30
	v_lshl_add_u64 v[14:15], v[8:9], 2, s[12:13]
	v_lshlrev_b64 v[8:9], 2, v[22:23]
	s_mov_b32 s5, s8
	s_mov_b32 s25, s10
	s_mov_b32 s17, s9
	s_mov_b32 s19, s11
	v_lshl_add_u64 v[4:5], v[30:31], 2, s[12:13]
	s_lshl_b64 s[10:11], s[22:23], 2
	v_lshl_add_u64 v[6:7], v[28:29], 2, s[12:13]
	v_lshl_add_u64 v[10:11], v[26:27], 2, s[12:13]
	;; [unrolled: 1-line block ×3, first 2 shown]
	s_add_i32 s9, s7, s6
	v_lshl_add_u64 v[18:19], s[14:15], 0, v[8:9]
	v_lshl_add_u64 v[32:33], s[20:21], 0, v[8:9]
	s_mov_b32 s26, 0
	s_mov_b64 s[6:7], 0
.LBB0_12:                               ; =>This Inner Loop Header: Depth=1
	v_lshl_add_u64 v[20:21], v[14:15], 0, s[6:7]
	v_mov_b32_e32 v8, v3
	v_lshl_add_u64 v[34:35], v[4:5], 0, s[6:7]
	v_lshl_add_u64 v[36:37], v[6:7], 0, s[6:7]
	;; [unrolled: 1-line block ×5, first 2 shown]
	global_load_dword v3, v[20:21], off
	global_load_dword v9, v[34:35], off
	;; [unrolled: 1-line block ×6, first 2 shown]
	s_add_i32 s26, s26, s22
	v_lshl_add_u64 v[34:35], v[32:33], 0, s[6:7]
	s_add_u32 s6, s6, s10
	s_addc_u32 s7, s7, s11
	s_add_i32 s9, s9, -1
	v_lshl_add_u64 v[22:23], v[22:23], 0, s[22:23]
	s_cmp_eq_u32 s9, 0
	s_waitcnt vmcnt(4)
	v_pk_mul_f32 v[36:37], s[4:5], v[8:9]
	s_nop 0
	v_add_f32_e32 v1, v36, v37
	s_waitcnt vmcnt(2)
	v_pk_mul_f32 v[38:39], s[24:25], v[44:45]
	s_waitcnt vmcnt(1)
	v_pk_mul_f32 v[40:41], s[16:17], v[16:17]
	v_add_f32_e32 v1, v1, v38
	v_add_f32_e32 v1, v1, v39
	v_add_f32_e32 v1, v1, v41
	s_waitcnt vmcnt(0)
	v_pk_mul_f32 v[20:21], s[18:19], v[2:3]
	v_add_f32_e32 v1, v40, v1
	v_add_f32_e32 v1, v21, v1
	;; [unrolled: 1-line block ×3, first 2 shown]
	v_mov_b32_e32 v16, v8
	v_add_f32_e32 v1, v0, v1
	global_store_dword v[34:35], v1, off
	s_cbranch_scc0 .LBB0_12
; %bb.13:
	v_add_u32_e32 v11, s26, v24
	v_add_u32_e32 v9, s26, v26
	v_add_u32_e32 v7, s26, v28
	v_add_u32_e32 v1, s26, v30
	v_mov_b32_e32 v17, v3
	s_branch .LBB0_15
.LBB0_14:
	v_mov_b64_e32 v[22:23], v[18:19]
	v_mov_b32_e32 v8, v3
.LBB0_15:
	v_mul_f32_e32 v20, s16, v8
	v_mov_b32_e32 v14, v1
	v_mov_b32_e32 v10, v7
	;; [unrolled: 1-line block ×5, first 2 shown]
	v_mov_b64_e32 v[4:5], v[22:23]
.LBB0_16:
	v_ashrrev_i32_e32 v11, 31, v10
	v_ashrrev_i32_e32 v15, 31, v14
	v_lshl_add_u64 v[10:11], v[10:11], 2, s[12:13]
	v_ashrrev_i32_e32 v9, 31, v8
	v_ashrrev_i32_e32 v7, 31, v6
	v_lshl_add_u64 v[12:13], v[14:15], 2, s[12:13]
	v_lshl_add_u64 v[8:9], v[8:9], 2, s[12:13]
	;; [unrolled: 1-line block ×3, first 2 shown]
	global_load_dword v3, v[10:11], off
	global_load_dword v14, v[8:9], off
	;; [unrolled: 1-line block ×4, first 2 shown]
	v_lshlrev_b64 v[4:5], 2, v[4:5]
	v_lshl_add_u64 v[6:7], s[14:15], 0, v[4:5]
	global_load_dword v8, v[6:7], off
	s_waitcnt vmcnt(4)
	v_pk_mul_f32 v[2:3], s[0:1], v[2:3]
	s_waitcnt vmcnt(2)
	v_pk_mul_f32 v[6:7], s[2:3], v[14:15]
	s_waitcnt vmcnt(1)
	v_fma_f32 v1, s8, v1, v2
	v_add_f32_e32 v1, v1, v3
	v_add_f32_e32 v1, v1, v6
	;; [unrolled: 1-line block ×5, first 2 shown]
	s_waitcnt vmcnt(0)
	v_fmac_f32_e32 v1, s18, v8
	v_add_f32_e32 v2, v0, v1
	v_lshl_add_u64 v[0:1], s[20:21], 0, v[4:5]
	global_store_dword v[0:1], v2, off
	s_endpgm
	.section	.rodata,"a",@progbits
	.p2align	6, 0x0
	.amdhsa_kernel _Z9hotspot3dPKfS0_Pfiiiffffffff
		.amdhsa_group_segment_fixed_size 0
		.amdhsa_private_segment_fixed_size 0
		.amdhsa_kernarg_size 328
		.amdhsa_user_sgpr_count 2
		.amdhsa_user_sgpr_dispatch_ptr 0
		.amdhsa_user_sgpr_queue_ptr 0
		.amdhsa_user_sgpr_kernarg_segment_ptr 1
		.amdhsa_user_sgpr_dispatch_id 0
		.amdhsa_user_sgpr_kernarg_preload_length 0
		.amdhsa_user_sgpr_kernarg_preload_offset 0
		.amdhsa_user_sgpr_private_segment_size 0
		.amdhsa_uses_dynamic_stack 0
		.amdhsa_enable_private_segment 0
		.amdhsa_system_sgpr_workgroup_id_x 1
		.amdhsa_system_sgpr_workgroup_id_y 1
		.amdhsa_system_sgpr_workgroup_id_z 0
		.amdhsa_system_sgpr_workgroup_info 0
		.amdhsa_system_vgpr_workitem_id 1
		.amdhsa_next_free_vgpr 64
		.amdhsa_next_free_sgpr 42
		.amdhsa_accum_offset 64
		.amdhsa_reserve_vcc 1
		.amdhsa_float_round_mode_32 0
		.amdhsa_float_round_mode_16_64 0
		.amdhsa_float_denorm_mode_32 3
		.amdhsa_float_denorm_mode_16_64 3
		.amdhsa_dx10_clamp 1
		.amdhsa_ieee_mode 1
		.amdhsa_fp16_overflow 0
		.amdhsa_tg_split 0
		.amdhsa_exception_fp_ieee_invalid_op 0
		.amdhsa_exception_fp_denorm_src 0
		.amdhsa_exception_fp_ieee_div_zero 0
		.amdhsa_exception_fp_ieee_overflow 0
		.amdhsa_exception_fp_ieee_underflow 0
		.amdhsa_exception_fp_ieee_inexact 0
		.amdhsa_exception_int_div_zero 0
	.end_amdhsa_kernel
	.text
.Lfunc_end0:
	.size	_Z9hotspot3dPKfS0_Pfiiiffffffff, .Lfunc_end0-_Z9hotspot3dPKfS0_Pfiiiffffffff
                                        ; -- End function
	.set _Z9hotspot3dPKfS0_Pfiiiffffffff.num_vgpr, 64
	.set _Z9hotspot3dPKfS0_Pfiiiffffffff.num_agpr, 0
	.set _Z9hotspot3dPKfS0_Pfiiiffffffff.numbered_sgpr, 42
	.set _Z9hotspot3dPKfS0_Pfiiiffffffff.num_named_barrier, 0
	.set _Z9hotspot3dPKfS0_Pfiiiffffffff.private_seg_size, 0
	.set _Z9hotspot3dPKfS0_Pfiiiffffffff.uses_vcc, 1
	.set _Z9hotspot3dPKfS0_Pfiiiffffffff.uses_flat_scratch, 0
	.set _Z9hotspot3dPKfS0_Pfiiiffffffff.has_dyn_sized_stack, 0
	.set _Z9hotspot3dPKfS0_Pfiiiffffffff.has_recursion, 0
	.set _Z9hotspot3dPKfS0_Pfiiiffffffff.has_indirect_call, 0
	.section	.AMDGPU.csdata,"",@progbits
; Kernel info:
; codeLenInByte = 1956
; TotalNumSgprs: 48
; NumVgprs: 64
; NumAgprs: 0
; TotalNumVgprs: 64
; ScratchSize: 0
; MemoryBound: 0
; FloatMode: 240
; IeeeMode: 1
; LDSByteSize: 0 bytes/workgroup (compile time only)
; SGPRBlocks: 5
; VGPRBlocks: 7
; NumSGPRsForWavesPerEU: 48
; NumVGPRsForWavesPerEU: 64
; AccumOffset: 64
; Occupancy: 8
; WaveLimiterHint : 0
; COMPUTE_PGM_RSRC2:SCRATCH_EN: 0
; COMPUTE_PGM_RSRC2:USER_SGPR: 2
; COMPUTE_PGM_RSRC2:TRAP_HANDLER: 0
; COMPUTE_PGM_RSRC2:TGID_X_EN: 1
; COMPUTE_PGM_RSRC2:TGID_Y_EN: 1
; COMPUTE_PGM_RSRC2:TGID_Z_EN: 0
; COMPUTE_PGM_RSRC2:TIDIG_COMP_CNT: 1
; COMPUTE_PGM_RSRC3_GFX90A:ACCUM_OFFSET: 15
; COMPUTE_PGM_RSRC3_GFX90A:TG_SPLIT: 0
	.text
	.p2alignl 6, 3212836864
	.fill 256, 4, 3212836864
	.section	.AMDGPU.gpr_maximums,"",@progbits
	.set amdgpu.max_num_vgpr, 0
	.set amdgpu.max_num_agpr, 0
	.set amdgpu.max_num_sgpr, 0
	.text
	.type	__hip_cuid_e822772d6d44de76,@object ; @__hip_cuid_e822772d6d44de76
	.section	.bss,"aw",@nobits
	.globl	__hip_cuid_e822772d6d44de76
__hip_cuid_e822772d6d44de76:
	.byte	0                               ; 0x0
	.size	__hip_cuid_e822772d6d44de76, 1

	.ident	"AMD clang version 22.0.0git (https://github.com/RadeonOpenCompute/llvm-project roc-7.2.4 26084 f58b06dce1f9c15707c5f808fd002e18c2accf7e)"
	.section	".note.GNU-stack","",@progbits
	.addrsig
	.addrsig_sym __hip_cuid_e822772d6d44de76
	.amdgpu_metadata
---
amdhsa.kernels:
  - .agpr_count:     0
    .args:
      - .actual_access:  read_only
        .address_space:  global
        .offset:         0
        .size:           8
        .value_kind:     global_buffer
      - .actual_access:  read_only
        .address_space:  global
        .offset:         8
        .size:           8
        .value_kind:     global_buffer
      - .actual_access:  write_only
        .address_space:  global
        .offset:         16
        .size:           8
        .value_kind:     global_buffer
      - .offset:         24
        .size:           4
        .value_kind:     by_value
      - .offset:         28
        .size:           4
        .value_kind:     by_value
      - .offset:         32
        .size:           4
        .value_kind:     by_value
      - .offset:         36
        .size:           4
        .value_kind:     by_value
      - .offset:         40
        .size:           4
        .value_kind:     by_value
      - .offset:         44
        .size:           4
        .value_kind:     by_value
      - .offset:         48
        .size:           4
        .value_kind:     by_value
      - .offset:         52
        .size:           4
        .value_kind:     by_value
      - .offset:         56
        .size:           4
        .value_kind:     by_value
      - .offset:         60
        .size:           4
        .value_kind:     by_value
      - .offset:         64
        .size:           4
        .value_kind:     by_value
      - .offset:         72
        .size:           4
        .value_kind:     hidden_block_count_x
      - .offset:         76
        .size:           4
        .value_kind:     hidden_block_count_y
      - .offset:         80
        .size:           4
        .value_kind:     hidden_block_count_z
      - .offset:         84
        .size:           2
        .value_kind:     hidden_group_size_x
      - .offset:         86
        .size:           2
        .value_kind:     hidden_group_size_y
      - .offset:         88
        .size:           2
        .value_kind:     hidden_group_size_z
      - .offset:         90
        .size:           2
        .value_kind:     hidden_remainder_x
      - .offset:         92
        .size:           2
        .value_kind:     hidden_remainder_y
      - .offset:         94
        .size:           2
        .value_kind:     hidden_remainder_z
      - .offset:         112
        .size:           8
        .value_kind:     hidden_global_offset_x
      - .offset:         120
        .size:           8
        .value_kind:     hidden_global_offset_y
      - .offset:         128
        .size:           8
        .value_kind:     hidden_global_offset_z
      - .offset:         136
        .size:           2
        .value_kind:     hidden_grid_dims
    .group_segment_fixed_size: 0
    .kernarg_segment_align: 8
    .kernarg_segment_size: 328
    .language:       OpenCL C
    .language_version:
      - 2
      - 0
    .max_flat_workgroup_size: 1024
    .name:           _Z9hotspot3dPKfS0_Pfiiiffffffff
    .private_segment_fixed_size: 0
    .sgpr_count:     48
    .sgpr_spill_count: 0
    .symbol:         _Z9hotspot3dPKfS0_Pfiiiffffffff.kd
    .uniform_work_group_size: 1
    .uses_dynamic_stack: false
    .vgpr_count:     64
    .vgpr_spill_count: 0
    .wavefront_size: 64
amdhsa.target:   amdgcn-amd-amdhsa--gfx950
amdhsa.version:
  - 1
  - 2
...

	.end_amdgpu_metadata
